;; amdgpu-corpus repo=ROCm/bitsandbytes kind=harvested arch=n/a opt=n/a
	.text
	.amdgcn_target "amdgcn-amd-amdhsa--gfx942"
	.amdhsa_code_object_version 6
	.protected	_Z18kQuantizeBlockwiseIfLi2048ELi4ELi0ELi2EEvPfPT_S0_PhS0_ii ; -- Begin function _Z18kQuantizeBlockwiseIfLi2048ELi4ELi0ELi2EEvPfPT_S0_PhS0_ii
	.globl	_Z18kQuantizeBlockwiseIfLi2048ELi4ELi0ELi2EEvPfPT_S0_PhS0_ii
	.p2align	8
	.type	_Z18kQuantizeBlockwiseIfLi2048ELi4ELi0ELi2EEvPfPT_S0_PhS0_ii,@function
_Z18kQuantizeBlockwiseIfLi2048ELi4ELi0ELi2EEvPfPT_S0_PhS0_ii: ; @_Z18kQuantizeBlockwiseIfLi2048ELi4ELi0ELi2EEvPfPT_S0_PhS0_ii
; %bb.0:
	s_load_dword s3, s[0:1], 0x30
	s_lshl_b32 s24, s2, 11
	s_waitcnt lgkmcnt(0)
	s_lshl_b32 s26, s3, 11
	s_cmp_ge_i32 s24, s26
	s_cbranch_scc1 .LBB129_133
; %bb.1:
	v_mbcnt_lo_u32_b32 v1, -1, 0
	v_mbcnt_hi_u32_b32 v2, -1, v1
	v_lshlrev_b32_e32 v1, 2, v0
	v_and_b32_e32 v1, 0xf00, v1
	v_or_b32_e32 v12, v2, v1
	v_lshlrev_b32_e32 v8, 2, v1
	v_add_u32_e32 v13, 64, v12
	v_lshrrev_b32_e32 v1, 5, v12
	s_load_dwordx2 s[2:3], s[0:1], 0x8
	s_load_dwordx4 s[16:19], s[0:1], 0x10
	s_load_dword s6, s[0:1], 0x2c
	v_or_b32_e32 v14, 0x80, v12
	v_add_lshl_u32 v16, v1, v12, 2
	v_lshrrev_b32_e32 v1, 5, v13
	v_mov_b32_e32 v3, 0
	v_add_u32_e32 v15, 0xc0, v12
	v_add_lshl_u32 v17, v1, v13, 2
	v_lshrrev_b32_e32 v1, 5, v14
	v_lshlrev_b32_e32 v4, 2, v2
	v_mov_b32_e32 v5, v3
	v_add_lshl_u32 v18, v1, v14, 2
	v_lshrrev_b32_e32 v1, 5, v15
	v_and_b32_e32 v20, 0x3c0, v0
	s_waitcnt lgkmcnt(0)
	v_lshl_add_u64 v[6:7], s[2:3], 0, v[4:5]
	v_mov_b32_e32 v9, v3
	v_add_lshl_u32 v19, v1, v15, 2
	v_add_u32_e32 v1, v2, v20
	v_lshl_add_u64 v[8:9], v[6:7], 0, v[8:9]
	v_lshlrev_b32_e32 v5, 2, v1
	v_bfe_u32 v6, v1, 3, 27
	v_add_lshl_u32 v21, v6, v5, 2
	v_and_b32_e32 v5, 63, v2
	v_cmp_ne_u32_e32 vcc, 63, v5
	v_add_u32_e32 v35, 0x2520, v4
	v_and_b32_e32 v4, 7, v2
	v_addc_co_u32_e32 v6, vcc, 0, v2, vcc
	v_cmp_gt_u32_e32 vcc, 62, v5
	v_lshlrev_b32_e32 v22, 2, v6
	v_cmp_gt_u32_e64 s[2:3], 8, v0
	v_cndmask_b32_e64 v6, 0, 1, vcc
	v_lshlrev_b32_e32 v6, 1, v6
	v_cmp_gt_u32_e32 vcc, 60, v5
	v_add_lshl_u32 v24, v6, v2, 2
	v_cmp_eq_u32_e64 s[4:5], 0, v0
	v_cndmask_b32_e64 v6, 0, 1, vcc
	v_lshlrev_b32_e32 v6, 2, v6
	v_cmp_gt_u32_e32 vcc, 56, v5
	v_add_lshl_u32 v26, v6, v2, 2
	v_add_u32_e32 v36, 1, v4
	v_cndmask_b32_e64 v6, 0, 1, vcc
	v_lshlrev_b32_e32 v6, 3, v6
	v_cmp_gt_u32_e32 vcc, 48, v5
	v_add_lshl_u32 v28, v6, v2, 2
	v_add_u32_e32 v38, 2, v4
	v_cndmask_b32_e64 v6, 0, 1, vcc
	v_cmp_gt_u32_e32 vcc, 32, v5
	v_add_u32_e32 v41, 4, v4
	v_lshlrev_b32_e32 v6, 4, v6
	v_cndmask_b32_e64 v5, 0, 1, vcc
	v_lshlrev_b32_e32 v5, 5, v5
	v_add_lshl_u32 v32, v5, v2, 2
	v_lshrrev_b32_e32 v5, 4, v0
	v_and_b32_e32 v5, 60, v5
	v_cmp_ne_u32_e32 vcc, 7, v4
	v_add_u32_e32 v34, 0x2520, v5
	v_lshlrev_b32_e32 v0, 1, v0
	v_addc_co_u32_e32 v5, vcc, 0, v2, vcc
	v_cmp_gt_u32_e32 vcc, 6, v4
	v_lshlrev_b32_e32 v37, 2, v5
	v_and_b32_e32 v0, 0x780, v0
	v_cndmask_b32_e64 v5, 0, 1, vcc
	v_cmp_gt_u32_e32 vcc, 4, v4
	v_lshrrev_b32_e32 v4, 4, v1
	v_and_b32_e32 v4, 0x7c, v4
	v_or_b32_e32 v43, v2, v0
	v_lshlrev_b32_e32 v5, 1, v5
	v_lshl_add_u32 v42, v1, 1, v4
	v_lshrrev_b32_e32 v1, 5, v0
	v_add_u32_e32 v45, 64, v43
	v_add_lshl_u32 v39, v5, v2, 2
	v_cndmask_b32_e64 v5, 0, 1, vcc
	v_add_u32_e32 v44, v1, v43
	v_lshrrev_b32_e32 v1, 5, v45
	v_lshlrev_b32_e32 v5, 2, v5
	v_and_b32_e32 v1, 0x7c, v1
	v_add_lshl_u32 v40, v5, v2, 2
	v_add_u32_e32 v46, v1, v45
	v_lshl_add_u64 v[4:5], s[18:19], 0, v[2:3]
	v_mov_b32_e32 v1, v3
	s_mov_b32 s20, 0
	v_add_u32_e32 v23, 1, v2
	v_add_u32_e32 v25, 2, v2
	;; [unrolled: 1-line block ×4, first 2 shown]
	v_add_lshl_u32 v30, v6, v2, 2
	v_add_u32_e32 v31, 16, v2
	v_add_u32_e32 v33, 32, v2
	v_cmp_eq_u32_e64 s[0:1], 0, v2
	v_lshl_add_u64 v[0:1], v[4:5], 0, v[0:1]
	s_sub_i32 s18, s6, s24
	s_mov_b32 s19, 0xff7fffff
	s_mov_b32 s27, 0x3d22faff
	;; [unrolled: 1-line block ×16, first 2 shown]
	s_branch .LBB129_3
.LBB129_2:                              ;   in Loop: Header=BB129_3 Depth=1
	s_or_b64 exec, exec, s[6:7]
	s_add_i32 s24, s24, s26
	s_sub_i32 s18, s18, s26
	s_cmp_ge_i32 s24, s26
	s_cbranch_scc1 .LBB129_133
.LBB129_3:                              ; =>This Inner Loop Header: Depth=1
	s_mov_b32 s21, s20
	s_min_i32 s43, s18, 0x800
	s_ashr_i32 s25, s24, 31
	s_mov_b32 s22, s20
	s_mov_b32 s23, s20
	v_mov_b64_e32 v[4:5], s[20:21]
	v_lshl_add_u64 v[10:11], s[24:25], 2, v[8:9]
	v_cmp_gt_u32_e32 vcc, s43, v12
	v_mov_b64_e32 v[6:7], s[22:23]
	s_waitcnt lgkmcnt(0)
	v_mov_b32_e32 v2, 0
	s_barrier
	s_and_saveexec_b64 s[6:7], vcc
	s_cbranch_execnz .LBB129_130
; %bb.4:                                ;   in Loop: Header=BB129_3 Depth=1
	s_or_b64 exec, exec, s[6:7]
	v_cmp_gt_u32_e32 vcc, s43, v13
	s_and_saveexec_b64 s[6:7], vcc
	s_cbranch_execnz .LBB129_131
.LBB129_5:                              ;   in Loop: Header=BB129_3 Depth=1
	s_or_b64 exec, exec, s[6:7]
	v_cmp_gt_u32_e32 vcc, s43, v14
	s_and_saveexec_b64 s[6:7], vcc
	s_cbranch_execnz .LBB129_132
.LBB129_6:                              ;   in Loop: Header=BB129_3 Depth=1
	s_or_b64 exec, exec, s[6:7]
	v_cmp_gt_u32_e32 vcc, s43, v15
	s_and_saveexec_b64 s[6:7], vcc
	s_cbranch_execz .LBB129_8
.LBB129_7:                              ;   in Loop: Header=BB129_3 Depth=1
	global_load_dword v7, v[10:11], off offset:768
.LBB129_8:                              ;   in Loop: Header=BB129_3 Depth=1
	s_or_b64 exec, exec, s[6:7]
	ds_write_b32 v16, v2
	s_waitcnt vmcnt(0)
	ds_write_b32 v17, v5
	ds_write_b32 v18, v6
	;; [unrolled: 1-line block ×3, first 2 shown]
	; wave barrier
	ds_read2_b32 v[6:7], v21 offset1:1
	ds_read2_b32 v[4:5], v21 offset0:2 offset1:3
	v_sub_u32_e64 v11, s43, v20 clamp
	v_cmp_lt_u32_e64 s[12:13], v33, v11
	s_waitcnt lgkmcnt(1)
	v_max3_f32 v2, |v6|, s19, |v7|
	s_waitcnt lgkmcnt(0)
	v_max3_f32 v2, v2, |v4|, |v5|
	ds_bpermute_b32 v10, v22, v2
	s_waitcnt lgkmcnt(0)
	v_cmp_lt_f32_e32 vcc, v2, v10
	s_nop 1
	v_cndmask_b32_e32 v10, v2, v10, vcc
	v_cmp_lt_u32_e32 vcc, v23, v11
	s_nop 1
	v_cndmask_b32_e32 v10, v2, v10, vcc
	ds_bpermute_b32 v47, v24, v10
	s_waitcnt lgkmcnt(0)
	v_cmp_lt_f32_e64 s[6:7], v10, v47
	s_nop 1
	v_cndmask_b32_e64 v47, v10, v47, s[6:7]
	v_cmp_lt_u32_e64 s[6:7], v25, v11
	s_nop 1
	v_cndmask_b32_e64 v10, v10, v47, s[6:7]
	ds_bpermute_b32 v47, v26, v10
	s_or_b64 s[6:7], vcc, s[6:7]
	s_waitcnt lgkmcnt(0)
	v_cmp_lt_f32_e64 s[8:9], v10, v47
	s_nop 1
	v_cndmask_b32_e64 v47, v10, v47, s[8:9]
	v_cmp_lt_u32_e64 s[8:9], v27, v11
	s_or_b64 s[6:7], s[8:9], s[6:7]
	s_nop 0
	v_cndmask_b32_e64 v10, v10, v47, s[8:9]
	ds_bpermute_b32 v47, v28, v10
	s_waitcnt lgkmcnt(0)
	v_cmp_lt_f32_e64 s[10:11], v10, v47
	s_nop 1
	v_cndmask_b32_e64 v47, v10, v47, s[10:11]
	v_cmp_lt_u32_e64 s[10:11], v29, v11
	s_or_b64 s[6:7], s[10:11], s[6:7]
	s_nop 0
	v_cndmask_b32_e64 v10, v10, v47, s[10:11]
	ds_bpermute_b32 v47, v30, v10
	;; [unrolled: 9-line block ×3, first 2 shown]
	s_waitcnt lgkmcnt(0)
	v_cmp_lt_f32_e32 vcc, v10, v11
	s_and_b64 vcc, s[12:13], vcc
	s_nop 0
	v_cndmask_b32_e32 v10, v10, v11, vcc
	s_or_b64 vcc, s[12:13], s[6:7]
	v_cndmask_b32_e32 v2, v2, v10, vcc
	s_and_saveexec_b64 s[6:7], s[0:1]
	s_cbranch_execz .LBB129_10
; %bb.9:                                ;   in Loop: Header=BB129_3 Depth=1
	ds_write_b32 v34, v2
.LBB129_10:                             ;   in Loop: Header=BB129_3 Depth=1
	s_or_b64 exec, exec, s[6:7]
	s_waitcnt lgkmcnt(0)
	s_barrier
	s_and_saveexec_b64 s[10:11], s[2:3]
	s_cbranch_execz .LBB129_12
; %bb.11:                               ;   in Loop: Header=BB129_3 Depth=1
	ds_read_b32 v2, v35
	s_add_i32 s6, s43, 63
	s_lshr_b32 s8, s6, 6
	s_waitcnt lgkmcnt(0)
	ds_bpermute_b32 v10, v37, v2
	s_waitcnt lgkmcnt(0)
	v_cmp_lt_f32_e32 vcc, v2, v10
	s_nop 1
	v_cndmask_b32_e32 v10, v2, v10, vcc
	v_cmp_gt_u32_e32 vcc, s8, v36
	s_nop 1
	v_cndmask_b32_e32 v11, v2, v10, vcc
	ds_bpermute_b32 v47, v39, v11
	s_waitcnt lgkmcnt(0)
	v_cmp_lt_f32_e64 s[6:7], v11, v47
	s_nop 1
	v_cndmask_b32_e64 v47, v11, v47, s[6:7]
	v_cmp_gt_u32_e64 s[6:7], s8, v38
	v_cmp_gt_u32_e64 s[8:9], s8, v41
	s_nop 0
	v_cndmask_b32_e64 v11, v11, v47, s[6:7]
	ds_bpermute_b32 v11, v40, v11
	v_cndmask_b32_e64 v10, v10, v47, s[6:7]
	s_waitcnt lgkmcnt(0)
	v_cmp_lt_f32_e64 s[6:7], v10, v11
	s_and_b64 s[6:7], s[8:9], s[6:7]
	s_nop 0
	v_cndmask_b32_e64 v10, v10, v11, s[6:7]
	v_cndmask_b32_e32 v2, v2, v10, vcc
.LBB129_12:                             ;   in Loop: Header=BB129_3 Depth=1
	s_or_b64 exec, exec, s[10:11]
	s_and_saveexec_b64 s[6:7], s[4:5]
	s_cbranch_execz .LBB129_14
; %bb.13:                               ;   in Loop: Header=BB129_3 Depth=1
	v_div_scale_f32 v10, s[8:9], v2, v2, 1.0
	v_rcp_f32_e32 v11, v10
	v_div_scale_f32 v47, vcc, 1.0, v2, 1.0
	s_ashr_i32 s8, s24, 11
	v_fma_f32 v48, -v10, v11, 1.0
	v_fmac_f32_e32 v11, v48, v11
	v_mul_f32_e32 v48, v47, v11
	v_fma_f32 v49, -v10, v48, v47
	v_fmac_f32_e32 v48, v49, v11
	s_ashr_i32 s9, s8, 31
	v_fma_f32 v10, -v10, v48, v47
	s_lshl_b64 s[8:9], s[8:9], 2
	v_div_fmas_f32 v10, v10, v11, v48
	s_add_u32 s8, s16, s8
	v_div_fixup_f32 v10, v10, v2, 1.0
	s_addc_u32 s9, s17, s9
	ds_write_b32 v3, v10 offset:9536
	global_store_dword v3, v2, s[8:9]
.LBB129_14:                             ;   in Loop: Header=BB129_3 Depth=1
	s_or_b64 exec, exec, s[6:7]
	s_waitcnt lgkmcnt(0)
	s_barrier
	ds_read_b32 v10, v3 offset:9536
                                        ; implicit-def: $vgpr2
	s_waitcnt lgkmcnt(0)
	v_mul_f32_e32 v6, v10, v6
	v_cmp_nlt_f32_e32 vcc, s27, v6
	s_and_saveexec_b64 s[6:7], vcc
	s_xor_b64 s[6:7], exec, s[6:7]
	s_cbranch_execz .LBB129_28
; %bb.15:                               ;   in Loop: Header=BB129_3 Depth=1
	v_cmp_nlt_f32_e32 vcc, s28, v6
                                        ; implicit-def: $vgpr2
	s_and_saveexec_b64 s[8:9], vcc
	s_xor_b64 s[8:9], exec, s[8:9]
	s_cbranch_execz .LBB129_21
; %bb.16:                               ;   in Loop: Header=BB129_3 Depth=1
	v_cmp_nlt_f32_e32 vcc, s29, v6
                                        ; implicit-def: $vgpr2
	s_and_saveexec_b64 s[10:11], vcc
	s_xor_b64 s[10:11], exec, s[10:11]
; %bb.17:                               ;   in Loop: Header=BB129_3 Depth=1
	v_cmp_lt_f32_e32 vcc, s30, v6
                                        ; implicit-def: $vgpr6
	s_nop 1
	v_cndmask_b32_e64 v2, 0, 1, vcc
; %bb.18:                               ;   in Loop: Header=BB129_3 Depth=1
	s_andn2_saveexec_b64 s[10:11], s[10:11]
; %bb.19:                               ;   in Loop: Header=BB129_3 Depth=1
	v_cmp_lt_f32_e32 vcc, s31, v6
	s_nop 1
	v_cndmask_b32_e64 v2, 2, 3, vcc
; %bb.20:                               ;   in Loop: Header=BB129_3 Depth=1
	s_or_b64 exec, exec, s[10:11]
                                        ; implicit-def: $vgpr6
.LBB129_21:                             ;   in Loop: Header=BB129_3 Depth=1
	s_andn2_saveexec_b64 s[8:9], s[8:9]
	s_cbranch_execz .LBB129_27
; %bb.22:                               ;   in Loop: Header=BB129_3 Depth=1
	v_cmp_nlt_f32_e32 vcc, s33, v6
                                        ; implicit-def: $vgpr2
	s_and_saveexec_b64 s[10:11], vcc
	s_xor_b64 s[10:11], exec, s[10:11]
; %bb.23:                               ;   in Loop: Header=BB129_3 Depth=1
	v_cmp_lt_f32_e32 vcc, s34, v6
                                        ; implicit-def: $vgpr6
	s_nop 1
	v_cndmask_b32_e64 v2, 4, 5, vcc
; %bb.24:                               ;   in Loop: Header=BB129_3 Depth=1
	s_andn2_saveexec_b64 s[10:11], s[10:11]
; %bb.25:                               ;   in Loop: Header=BB129_3 Depth=1
	v_cmp_lt_f32_e32 vcc, s35, v6
	s_nop 1
	v_cndmask_b32_e64 v2, 6, 7, vcc
; %bb.26:                               ;   in Loop: Header=BB129_3 Depth=1
	s_or_b64 exec, exec, s[10:11]
.LBB129_27:                             ;   in Loop: Header=BB129_3 Depth=1
	s_or_b64 exec, exec, s[8:9]
                                        ; implicit-def: $vgpr6
.LBB129_28:                             ;   in Loop: Header=BB129_3 Depth=1
	s_andn2_saveexec_b64 s[6:7], s[6:7]
	s_cbranch_execz .LBB129_42
; %bb.29:                               ;   in Loop: Header=BB129_3 Depth=1
	v_cmp_nlt_f32_e32 vcc, s36, v6
                                        ; implicit-def: $vgpr2
	s_and_saveexec_b64 s[8:9], vcc
	s_xor_b64 s[8:9], exec, s[8:9]
	s_cbranch_execz .LBB129_35
; %bb.30:                               ;   in Loop: Header=BB129_3 Depth=1
	v_cmp_nlt_f32_e32 vcc, s37, v6
                                        ; implicit-def: $vgpr2
	s_and_saveexec_b64 s[10:11], vcc
	s_xor_b64 s[10:11], exec, s[10:11]
; %bb.31:                               ;   in Loop: Header=BB129_3 Depth=1
	v_cmp_lt_f32_e32 vcc, s38, v6
                                        ; implicit-def: $vgpr6
	s_nop 1
	v_cndmask_b32_e64 v2, 8, 9, vcc
; %bb.32:                               ;   in Loop: Header=BB129_3 Depth=1
	s_andn2_saveexec_b64 s[10:11], s[10:11]
; %bb.33:                               ;   in Loop: Header=BB129_3 Depth=1
	v_cmp_lt_f32_e32 vcc, s39, v6
	s_nop 1
	v_cndmask_b32_e64 v2, 10, 11, vcc
; %bb.34:                               ;   in Loop: Header=BB129_3 Depth=1
	s_or_b64 exec, exec, s[10:11]
                                        ; implicit-def: $vgpr6
.LBB129_35:                             ;   in Loop: Header=BB129_3 Depth=1
	s_andn2_saveexec_b64 s[8:9], s[8:9]
	s_cbranch_execz .LBB129_41
; %bb.36:                               ;   in Loop: Header=BB129_3 Depth=1
	v_cmp_nlt_f32_e32 vcc, s40, v6
                                        ; implicit-def: $vgpr2
	s_and_saveexec_b64 s[10:11], vcc
	s_xor_b64 s[10:11], exec, s[10:11]
; %bb.37:                               ;   in Loop: Header=BB129_3 Depth=1
	v_cmp_lt_f32_e32 vcc, s41, v6
                                        ; implicit-def: $vgpr6
	s_nop 1
	v_cndmask_b32_e64 v2, 12, 13, vcc
; %bb.38:                               ;   in Loop: Header=BB129_3 Depth=1
	s_andn2_saveexec_b64 s[10:11], s[10:11]
; %bb.39:                               ;   in Loop: Header=BB129_3 Depth=1
	v_cmp_lt_f32_e32 vcc, s42, v6
	s_nop 1
	v_cndmask_b32_e64 v2, 14, 15, vcc
; %bb.40:                               ;   in Loop: Header=BB129_3 Depth=1
	s_or_b64 exec, exec, s[10:11]
.LBB129_41:                             ;   in Loop: Header=BB129_3 Depth=1
	s_or_b64 exec, exec, s[8:9]
.LBB129_42:                             ;   in Loop: Header=BB129_3 Depth=1
	s_or_b64 exec, exec, s[6:7]
	v_mul_f32_e32 v7, v10, v7
	v_cmp_nlt_f32_e32 vcc, s27, v7
                                        ; implicit-def: $vgpr6
	s_and_saveexec_b64 s[6:7], vcc
	s_xor_b64 s[6:7], exec, s[6:7]
	s_cbranch_execz .LBB129_56
; %bb.43:                               ;   in Loop: Header=BB129_3 Depth=1
	v_cmp_nlt_f32_e32 vcc, s28, v7
                                        ; implicit-def: $vgpr6
	s_and_saveexec_b64 s[8:9], vcc
	s_xor_b64 s[8:9], exec, s[8:9]
	s_cbranch_execz .LBB129_49
; %bb.44:                               ;   in Loop: Header=BB129_3 Depth=1
	v_cmp_nlt_f32_e32 vcc, s29, v7
                                        ; implicit-def: $vgpr6
	s_and_saveexec_b64 s[10:11], vcc
	s_xor_b64 s[10:11], exec, s[10:11]
; %bb.45:                               ;   in Loop: Header=BB129_3 Depth=1
	v_cmp_lt_f32_e32 vcc, s30, v7
                                        ; implicit-def: $vgpr7
	s_nop 1
	v_cndmask_b32_e64 v6, 0, 1, vcc
; %bb.46:                               ;   in Loop: Header=BB129_3 Depth=1
	s_andn2_saveexec_b64 s[10:11], s[10:11]
; %bb.47:                               ;   in Loop: Header=BB129_3 Depth=1
	v_cmp_lt_f32_e32 vcc, s31, v7
	s_nop 1
	v_cndmask_b32_e64 v6, 2, 3, vcc
; %bb.48:                               ;   in Loop: Header=BB129_3 Depth=1
	s_or_b64 exec, exec, s[10:11]
                                        ; implicit-def: $vgpr7
.LBB129_49:                             ;   in Loop: Header=BB129_3 Depth=1
	s_andn2_saveexec_b64 s[8:9], s[8:9]
	s_cbranch_execz .LBB129_55
; %bb.50:                               ;   in Loop: Header=BB129_3 Depth=1
	v_cmp_nlt_f32_e32 vcc, s33, v7
                                        ; implicit-def: $vgpr6
	s_and_saveexec_b64 s[10:11], vcc
	s_xor_b64 s[10:11], exec, s[10:11]
; %bb.51:                               ;   in Loop: Header=BB129_3 Depth=1
	v_cmp_lt_f32_e32 vcc, s34, v7
                                        ; implicit-def: $vgpr7
	s_nop 1
	v_cndmask_b32_e64 v6, 4, 5, vcc
; %bb.52:                               ;   in Loop: Header=BB129_3 Depth=1
	s_andn2_saveexec_b64 s[10:11], s[10:11]
; %bb.53:                               ;   in Loop: Header=BB129_3 Depth=1
	v_cmp_lt_f32_e32 vcc, s35, v7
	s_nop 1
	v_cndmask_b32_e64 v6, 6, 7, vcc
; %bb.54:                               ;   in Loop: Header=BB129_3 Depth=1
	s_or_b64 exec, exec, s[10:11]
.LBB129_55:                             ;   in Loop: Header=BB129_3 Depth=1
	s_or_b64 exec, exec, s[8:9]
                                        ; implicit-def: $vgpr7
.LBB129_56:                             ;   in Loop: Header=BB129_3 Depth=1
	s_andn2_saveexec_b64 s[6:7], s[6:7]
	s_cbranch_execz .LBB129_70
; %bb.57:                               ;   in Loop: Header=BB129_3 Depth=1
	v_cmp_nlt_f32_e32 vcc, s36, v7
                                        ; implicit-def: $vgpr6
	s_and_saveexec_b64 s[8:9], vcc
	s_xor_b64 s[8:9], exec, s[8:9]
	s_cbranch_execz .LBB129_63
; %bb.58:                               ;   in Loop: Header=BB129_3 Depth=1
	v_cmp_nlt_f32_e32 vcc, s37, v7
                                        ; implicit-def: $vgpr6
	s_and_saveexec_b64 s[10:11], vcc
	s_xor_b64 s[10:11], exec, s[10:11]
; %bb.59:                               ;   in Loop: Header=BB129_3 Depth=1
	v_cmp_lt_f32_e32 vcc, s38, v7
                                        ; implicit-def: $vgpr7
	s_nop 1
	v_cndmask_b32_e64 v6, 8, 9, vcc
; %bb.60:                               ;   in Loop: Header=BB129_3 Depth=1
	s_andn2_saveexec_b64 s[10:11], s[10:11]
; %bb.61:                               ;   in Loop: Header=BB129_3 Depth=1
	v_cmp_lt_f32_e32 vcc, s39, v7
	s_nop 1
	v_cndmask_b32_e64 v6, 10, 11, vcc
; %bb.62:                               ;   in Loop: Header=BB129_3 Depth=1
	s_or_b64 exec, exec, s[10:11]
                                        ; implicit-def: $vgpr7
.LBB129_63:                             ;   in Loop: Header=BB129_3 Depth=1
	s_andn2_saveexec_b64 s[8:9], s[8:9]
	s_cbranch_execz .LBB129_69
; %bb.64:                               ;   in Loop: Header=BB129_3 Depth=1
	v_cmp_nlt_f32_e32 vcc, s40, v7
                                        ; implicit-def: $vgpr6
	s_and_saveexec_b64 s[10:11], vcc
	s_xor_b64 s[10:11], exec, s[10:11]
; %bb.65:                               ;   in Loop: Header=BB129_3 Depth=1
	v_cmp_lt_f32_e32 vcc, s41, v7
                                        ; implicit-def: $vgpr7
	s_nop 1
	v_cndmask_b32_e64 v6, 12, 13, vcc
; %bb.66:                               ;   in Loop: Header=BB129_3 Depth=1
	s_andn2_saveexec_b64 s[10:11], s[10:11]
; %bb.67:                               ;   in Loop: Header=BB129_3 Depth=1
	v_cmp_lt_f32_e32 vcc, s42, v7
	s_nop 1
	v_cndmask_b32_e64 v6, 14, 15, vcc
; %bb.68:                               ;   in Loop: Header=BB129_3 Depth=1
	s_or_b64 exec, exec, s[10:11]
.LBB129_69:                             ;   in Loop: Header=BB129_3 Depth=1
	s_or_b64 exec, exec, s[8:9]
.LBB129_70:                             ;   in Loop: Header=BB129_3 Depth=1
	s_or_b64 exec, exec, s[6:7]
	v_mul_f32_e32 v7, v10, v4
	v_cmp_nlt_f32_e32 vcc, s27, v7
                                        ; implicit-def: $vgpr4
	s_and_saveexec_b64 s[6:7], vcc
	s_xor_b64 s[6:7], exec, s[6:7]
	s_cbranch_execz .LBB129_84
; %bb.71:                               ;   in Loop: Header=BB129_3 Depth=1
	v_cmp_nlt_f32_e32 vcc, s28, v7
                                        ; implicit-def: $vgpr4
	s_and_saveexec_b64 s[8:9], vcc
	s_xor_b64 s[8:9], exec, s[8:9]
	s_cbranch_execz .LBB129_77
; %bb.72:                               ;   in Loop: Header=BB129_3 Depth=1
	v_cmp_nlt_f32_e32 vcc, s29, v7
                                        ; implicit-def: $vgpr4
	s_and_saveexec_b64 s[10:11], vcc
	s_xor_b64 s[10:11], exec, s[10:11]
; %bb.73:                               ;   in Loop: Header=BB129_3 Depth=1
	v_cmp_lt_f32_e32 vcc, s30, v7
                                        ; implicit-def: $vgpr7
	s_nop 1
	v_cndmask_b32_e64 v4, 0, 1, vcc
; %bb.74:                               ;   in Loop: Header=BB129_3 Depth=1
	s_andn2_saveexec_b64 s[10:11], s[10:11]
; %bb.75:                               ;   in Loop: Header=BB129_3 Depth=1
	v_cmp_lt_f32_e32 vcc, s31, v7
	s_nop 1
	v_cndmask_b32_e64 v4, 2, 3, vcc
; %bb.76:                               ;   in Loop: Header=BB129_3 Depth=1
	s_or_b64 exec, exec, s[10:11]
                                        ; implicit-def: $vgpr7
.LBB129_77:                             ;   in Loop: Header=BB129_3 Depth=1
	s_andn2_saveexec_b64 s[8:9], s[8:9]
	s_cbranch_execz .LBB129_83
; %bb.78:                               ;   in Loop: Header=BB129_3 Depth=1
	v_cmp_nlt_f32_e32 vcc, s33, v7
                                        ; implicit-def: $vgpr4
	s_and_saveexec_b64 s[10:11], vcc
	s_xor_b64 s[10:11], exec, s[10:11]
; %bb.79:                               ;   in Loop: Header=BB129_3 Depth=1
	v_cmp_lt_f32_e32 vcc, s34, v7
                                        ; implicit-def: $vgpr7
	s_nop 1
	v_cndmask_b32_e64 v4, 4, 5, vcc
; %bb.80:                               ;   in Loop: Header=BB129_3 Depth=1
	s_andn2_saveexec_b64 s[10:11], s[10:11]
; %bb.81:                               ;   in Loop: Header=BB129_3 Depth=1
	v_cmp_lt_f32_e32 vcc, s35, v7
	s_nop 1
	v_cndmask_b32_e64 v4, 6, 7, vcc
; %bb.82:                               ;   in Loop: Header=BB129_3 Depth=1
	s_or_b64 exec, exec, s[10:11]
.LBB129_83:                             ;   in Loop: Header=BB129_3 Depth=1
	s_or_b64 exec, exec, s[8:9]
                                        ; implicit-def: $vgpr7
.LBB129_84:                             ;   in Loop: Header=BB129_3 Depth=1
	s_andn2_saveexec_b64 s[6:7], s[6:7]
	s_cbranch_execz .LBB129_98
; %bb.85:                               ;   in Loop: Header=BB129_3 Depth=1
	v_cmp_nlt_f32_e32 vcc, s36, v7
                                        ; implicit-def: $vgpr4
	s_and_saveexec_b64 s[8:9], vcc
	s_xor_b64 s[8:9], exec, s[8:9]
	s_cbranch_execz .LBB129_91
; %bb.86:                               ;   in Loop: Header=BB129_3 Depth=1
	v_cmp_nlt_f32_e32 vcc, s37, v7
                                        ; implicit-def: $vgpr4
	s_and_saveexec_b64 s[10:11], vcc
	s_xor_b64 s[10:11], exec, s[10:11]
; %bb.87:                               ;   in Loop: Header=BB129_3 Depth=1
	v_cmp_lt_f32_e32 vcc, s38, v7
                                        ; implicit-def: $vgpr7
	s_nop 1
	v_cndmask_b32_e64 v4, 8, 9, vcc
; %bb.88:                               ;   in Loop: Header=BB129_3 Depth=1
	s_andn2_saveexec_b64 s[10:11], s[10:11]
; %bb.89:                               ;   in Loop: Header=BB129_3 Depth=1
	v_cmp_lt_f32_e32 vcc, s39, v7
	s_nop 1
	v_cndmask_b32_e64 v4, 10, 11, vcc
; %bb.90:                               ;   in Loop: Header=BB129_3 Depth=1
	s_or_b64 exec, exec, s[10:11]
                                        ; implicit-def: $vgpr7
.LBB129_91:                             ;   in Loop: Header=BB129_3 Depth=1
	s_andn2_saveexec_b64 s[8:9], s[8:9]
	s_cbranch_execz .LBB129_97
; %bb.92:                               ;   in Loop: Header=BB129_3 Depth=1
	v_cmp_nlt_f32_e32 vcc, s40, v7
                                        ; implicit-def: $vgpr4
	s_and_saveexec_b64 s[10:11], vcc
	s_xor_b64 s[10:11], exec, s[10:11]
; %bb.93:                               ;   in Loop: Header=BB129_3 Depth=1
	v_cmp_lt_f32_e32 vcc, s41, v7
                                        ; implicit-def: $vgpr7
	s_nop 1
	v_cndmask_b32_e64 v4, 12, 13, vcc
; %bb.94:                               ;   in Loop: Header=BB129_3 Depth=1
	s_andn2_saveexec_b64 s[10:11], s[10:11]
; %bb.95:                               ;   in Loop: Header=BB129_3 Depth=1
	v_cmp_lt_f32_e32 vcc, s42, v7
	s_nop 1
	v_cndmask_b32_e64 v4, 14, 15, vcc
; %bb.96:                               ;   in Loop: Header=BB129_3 Depth=1
	s_or_b64 exec, exec, s[10:11]
.LBB129_97:                             ;   in Loop: Header=BB129_3 Depth=1
	s_or_b64 exec, exec, s[8:9]
.LBB129_98:                             ;   in Loop: Header=BB129_3 Depth=1
	s_or_b64 exec, exec, s[6:7]
	v_mul_f32_e32 v7, v10, v5
	v_cmp_nlt_f32_e32 vcc, s27, v7
                                        ; implicit-def: $vgpr5
	s_and_saveexec_b64 s[6:7], vcc
	s_xor_b64 s[6:7], exec, s[6:7]
	s_cbranch_execz .LBB129_112
; %bb.99:                               ;   in Loop: Header=BB129_3 Depth=1
	v_cmp_nlt_f32_e32 vcc, s28, v7
                                        ; implicit-def: $vgpr5
	s_and_saveexec_b64 s[8:9], vcc
	s_xor_b64 s[8:9], exec, s[8:9]
	s_cbranch_execz .LBB129_105
; %bb.100:                              ;   in Loop: Header=BB129_3 Depth=1
	v_cmp_nlt_f32_e32 vcc, s29, v7
                                        ; implicit-def: $vgpr5
	s_and_saveexec_b64 s[10:11], vcc
	s_xor_b64 s[10:11], exec, s[10:11]
; %bb.101:                              ;   in Loop: Header=BB129_3 Depth=1
	v_cmp_lt_f32_e32 vcc, s30, v7
                                        ; implicit-def: $vgpr7
	s_nop 1
	v_cndmask_b32_e64 v5, 0, 1, vcc
; %bb.102:                              ;   in Loop: Header=BB129_3 Depth=1
	s_andn2_saveexec_b64 s[10:11], s[10:11]
; %bb.103:                              ;   in Loop: Header=BB129_3 Depth=1
	v_cmp_lt_f32_e32 vcc, s31, v7
	s_nop 1
	v_cndmask_b32_e64 v5, 2, 3, vcc
; %bb.104:                              ;   in Loop: Header=BB129_3 Depth=1
	s_or_b64 exec, exec, s[10:11]
                                        ; implicit-def: $vgpr7
.LBB129_105:                            ;   in Loop: Header=BB129_3 Depth=1
	s_andn2_saveexec_b64 s[8:9], s[8:9]
	s_cbranch_execz .LBB129_111
; %bb.106:                              ;   in Loop: Header=BB129_3 Depth=1
	v_cmp_nlt_f32_e32 vcc, s33, v7
                                        ; implicit-def: $vgpr5
	s_and_saveexec_b64 s[10:11], vcc
	s_xor_b64 s[10:11], exec, s[10:11]
; %bb.107:                              ;   in Loop: Header=BB129_3 Depth=1
	v_cmp_lt_f32_e32 vcc, s34, v7
                                        ; implicit-def: $vgpr7
	s_nop 1
	v_cndmask_b32_e64 v5, 4, 5, vcc
; %bb.108:                              ;   in Loop: Header=BB129_3 Depth=1
	s_andn2_saveexec_b64 s[10:11], s[10:11]
; %bb.109:                              ;   in Loop: Header=BB129_3 Depth=1
	v_cmp_lt_f32_e32 vcc, s35, v7
	s_nop 1
	v_cndmask_b32_e64 v5, 6, 7, vcc
; %bb.110:                              ;   in Loop: Header=BB129_3 Depth=1
	s_or_b64 exec, exec, s[10:11]
.LBB129_111:                            ;   in Loop: Header=BB129_3 Depth=1
	s_or_b64 exec, exec, s[8:9]
                                        ; implicit-def: $vgpr7
.LBB129_112:                            ;   in Loop: Header=BB129_3 Depth=1
	s_andn2_saveexec_b64 s[6:7], s[6:7]
	s_cbranch_execz .LBB129_126
; %bb.113:                              ;   in Loop: Header=BB129_3 Depth=1
	v_cmp_nlt_f32_e32 vcc, s36, v7
                                        ; implicit-def: $vgpr5
	s_and_saveexec_b64 s[8:9], vcc
	s_xor_b64 s[8:9], exec, s[8:9]
	s_cbranch_execz .LBB129_119
; %bb.114:                              ;   in Loop: Header=BB129_3 Depth=1
	v_cmp_nlt_f32_e32 vcc, s37, v7
                                        ; implicit-def: $vgpr5
	s_and_saveexec_b64 s[10:11], vcc
	s_xor_b64 s[10:11], exec, s[10:11]
; %bb.115:                              ;   in Loop: Header=BB129_3 Depth=1
	v_cmp_lt_f32_e32 vcc, s38, v7
                                        ; implicit-def: $vgpr7
	s_nop 1
	v_cndmask_b32_e64 v5, 8, 9, vcc
; %bb.116:                              ;   in Loop: Header=BB129_3 Depth=1
	s_andn2_saveexec_b64 s[10:11], s[10:11]
; %bb.117:                              ;   in Loop: Header=BB129_3 Depth=1
	v_cmp_lt_f32_e32 vcc, s39, v7
	s_nop 1
	v_cndmask_b32_e64 v5, 10, 11, vcc
; %bb.118:                              ;   in Loop: Header=BB129_3 Depth=1
	s_or_b64 exec, exec, s[10:11]
                                        ; implicit-def: $vgpr7
.LBB129_119:                            ;   in Loop: Header=BB129_3 Depth=1
	s_andn2_saveexec_b64 s[8:9], s[8:9]
	s_cbranch_execz .LBB129_125
; %bb.120:                              ;   in Loop: Header=BB129_3 Depth=1
	v_cmp_nlt_f32_e32 vcc, s40, v7
                                        ; implicit-def: $vgpr5
	s_and_saveexec_b64 s[10:11], vcc
	s_xor_b64 s[10:11], exec, s[10:11]
; %bb.121:                              ;   in Loop: Header=BB129_3 Depth=1
	v_cmp_lt_f32_e32 vcc, s41, v7
                                        ; implicit-def: $vgpr7
	s_nop 1
	v_cndmask_b32_e64 v5, 12, 13, vcc
; %bb.122:                              ;   in Loop: Header=BB129_3 Depth=1
	s_andn2_saveexec_b64 s[10:11], s[10:11]
; %bb.123:                              ;   in Loop: Header=BB129_3 Depth=1
	v_cmp_lt_f32_e32 vcc, s42, v7
	s_nop 1
	v_cndmask_b32_e64 v5, 14, 15, vcc
; %bb.124:                              ;   in Loop: Header=BB129_3 Depth=1
	s_or_b64 exec, exec, s[10:11]
.LBB129_125:                            ;   in Loop: Header=BB129_3 Depth=1
	s_or_b64 exec, exec, s[8:9]
.LBB129_126:                            ;   in Loop: Header=BB129_3 Depth=1
	s_or_b64 exec, exec, s[6:7]
	v_lshlrev_b16_e32 v2, 4, v2
	v_lshlrev_b16_e32 v4, 4, v4
	v_or_b32_e32 v2, v6, v2
	v_or_b32_e32 v4, v5, v4
	s_barrier
	s_add_i32 s8, s43, 1
	ds_write_b8 v42, v2 offset:8448
	ds_write_b8 v42, v4 offset:8449
	; wave barrier
	ds_read_u8 v2, v46 offset:8448
	s_lshr_b32 s9, s8, 31
	s_ashr_i32 s6, s24, 1
	s_add_i32 s8, s8, s9
	s_ashr_i32 s7, s6, 31
	s_ashr_i32 s8, s8, 1
	v_lshl_add_u64 v[4:5], v[0:1], 0, s[6:7]
	v_cmp_gt_u32_e32 vcc, s8, v43
	s_and_saveexec_b64 s[6:7], vcc
	s_xor_b64 s[6:7], exec, s[6:7]
	s_cbranch_execz .LBB129_128
; %bb.127:                              ;   in Loop: Header=BB129_3 Depth=1
	ds_read_u8 v6, v44 offset:8448
	s_waitcnt lgkmcnt(0)
	global_store_byte v[4:5], v6, off
.LBB129_128:                            ;   in Loop: Header=BB129_3 Depth=1
	s_or_b64 exec, exec, s[6:7]
	v_cmp_gt_u32_e32 vcc, s8, v45
	s_and_saveexec_b64 s[6:7], vcc
	s_cbranch_execz .LBB129_2
; %bb.129:                              ;   in Loop: Header=BB129_3 Depth=1
	s_waitcnt lgkmcnt(0)
	global_store_byte v[4:5], v2, off offset:64
	s_branch .LBB129_2
.LBB129_130:                            ;   in Loop: Header=BB129_3 Depth=1
	global_load_dword v2, v[10:11], off
	v_mov_b32_e32 v4, v3
	v_mov_b32_e32 v5, v3
	s_waitcnt vmcnt(0)
	v_mov_b64_e32 v[6:7], v[4:5]
	v_mov_b64_e32 v[4:5], v[2:3]
	s_or_b64 exec, exec, s[6:7]
	v_cmp_gt_u32_e32 vcc, s43, v13
	s_and_saveexec_b64 s[6:7], vcc
	s_cbranch_execz .LBB129_5
.LBB129_131:                            ;   in Loop: Header=BB129_3 Depth=1
	global_load_dword v5, v[10:11], off offset:256
	s_or_b64 exec, exec, s[6:7]
	v_cmp_gt_u32_e32 vcc, s43, v14
	s_and_saveexec_b64 s[6:7], vcc
	s_cbranch_execz .LBB129_6
.LBB129_132:                            ;   in Loop: Header=BB129_3 Depth=1
	global_load_dword v6, v[10:11], off offset:512
	s_or_b64 exec, exec, s[6:7]
	v_cmp_gt_u32_e32 vcc, s43, v15
	s_and_saveexec_b64 s[6:7], vcc
	s_cbranch_execnz .LBB129_7
	s_branch .LBB129_8
.LBB129_133:
	s_endpgm
	.section	.rodata,"a",@progbits
	.p2align	6, 0x0
	.amdhsa_kernel _Z18kQuantizeBlockwiseIfLi2048ELi4ELi0ELi2EEvPfPT_S0_PhS0_ii
		.amdhsa_group_segment_fixed_size 9540
		.amdhsa_private_segment_fixed_size 0
		.amdhsa_kernarg_size 304
		.amdhsa_user_sgpr_count 2
		.amdhsa_user_sgpr_dispatch_ptr 0
		.amdhsa_user_sgpr_queue_ptr 0
		.amdhsa_user_sgpr_kernarg_segment_ptr 1
		.amdhsa_user_sgpr_dispatch_id 0
		.amdhsa_user_sgpr_kernarg_preload_length 0
		.amdhsa_user_sgpr_kernarg_preload_offset 0
		.amdhsa_user_sgpr_private_segment_size 0
		.amdhsa_uses_dynamic_stack 0
		.amdhsa_enable_private_segment 0
		.amdhsa_system_sgpr_workgroup_id_x 1
		.amdhsa_system_sgpr_workgroup_id_y 0
		.amdhsa_system_sgpr_workgroup_id_z 0
		.amdhsa_system_sgpr_workgroup_info 0
		.amdhsa_system_vgpr_workitem_id 0
		.amdhsa_next_free_vgpr 50
		.amdhsa_next_free_sgpr 44
		.amdhsa_accum_offset 52
		.amdhsa_reserve_vcc 1
		.amdhsa_float_round_mode_32 0
		.amdhsa_float_round_mode_16_64 0
		.amdhsa_float_denorm_mode_32 3
		.amdhsa_float_denorm_mode_16_64 3
		.amdhsa_dx10_clamp 1
		.amdhsa_ieee_mode 1
		.amdhsa_fp16_overflow 0
		.amdhsa_tg_split 0
		.amdhsa_exception_fp_ieee_invalid_op 0
		.amdhsa_exception_fp_denorm_src 0
		.amdhsa_exception_fp_ieee_div_zero 0
		.amdhsa_exception_fp_ieee_overflow 0
		.amdhsa_exception_fp_ieee_underflow 0
		.amdhsa_exception_fp_ieee_inexact 0
		.amdhsa_exception_int_div_zero 0
	.end_amdhsa_kernel
	.section	.text._Z18kQuantizeBlockwiseIfLi2048ELi4ELi0ELi2EEvPfPT_S0_PhS0_ii,"axG",@progbits,_Z18kQuantizeBlockwiseIfLi2048ELi4ELi0ELi2EEvPfPT_S0_PhS0_ii,comdat
.Lfunc_end129:
	.size	_Z18kQuantizeBlockwiseIfLi2048ELi4ELi0ELi2EEvPfPT_S0_PhS0_ii, .Lfunc_end129-_Z18kQuantizeBlockwiseIfLi2048ELi4ELi0ELi2EEvPfPT_S0_PhS0_ii
                                        ; -- End function
	.section	.AMDGPU.csdata,"",@progbits
; Kernel info:
; codeLenInByte = 3036
; NumSgprs: 50
; NumVgprs: 50
; NumAgprs: 0
; TotalNumVgprs: 50
; ScratchSize: 0
; MemoryBound: 0
; FloatMode: 240
; IeeeMode: 1
; LDSByteSize: 9540 bytes/workgroup (compile time only)
; SGPRBlocks: 6
; VGPRBlocks: 6
; NumSGPRsForWavesPerEU: 50
; NumVGPRsForWavesPerEU: 50
; AccumOffset: 52
; Occupancy: 8
; WaveLimiterHint : 0
; COMPUTE_PGM_RSRC2:SCRATCH_EN: 0
; COMPUTE_PGM_RSRC2:USER_SGPR: 2
; COMPUTE_PGM_RSRC2:TRAP_HANDLER: 0
; COMPUTE_PGM_RSRC2:TGID_X_EN: 1
; COMPUTE_PGM_RSRC2:TGID_Y_EN: 0
; COMPUTE_PGM_RSRC2:TGID_Z_EN: 0
; COMPUTE_PGM_RSRC2:TIDIG_COMP_CNT: 0
; COMPUTE_PGM_RSRC3_GFX90A:ACCUM_OFFSET: 12
; COMPUTE_PGM_RSRC3_GFX90A:TG_SPLIT: 0
	.section	.text._Z18kQuantizeBlockwiseIfLi1024ELi4ELi0ELi2EEvPfPT_S0_PhS0_ii,"axG",@progbits,_Z18kQuantizeBlockwiseIfLi1024ELi4ELi0ELi2EEvPfPT_S0_PhS0_ii,comdat
